;; amdgpu-corpus repo=ROCm/rocFFT kind=compiled arch=gfx1201 opt=O3
	.text
	.amdgcn_target "amdgcn-amd-amdhsa--gfx1201"
	.amdhsa_code_object_version 6
	.protected	bluestein_single_back_len200_dim1_dp_op_CI_CI ; -- Begin function bluestein_single_back_len200_dim1_dp_op_CI_CI
	.globl	bluestein_single_back_len200_dim1_dp_op_CI_CI
	.p2align	8
	.type	bluestein_single_back_len200_dim1_dp_op_CI_CI,@function
bluestein_single_back_len200_dim1_dp_op_CI_CI: ; @bluestein_single_back_len200_dim1_dp_op_CI_CI
; %bb.0:
	s_load_b128 s[8:11], s[0:1], 0x28
	v_mul_u32_u24_e32 v1, 0xccd, v0
	s_mov_b32 s2, exec_lo
	s_delay_alu instid0(VALU_DEP_1) | instskip(NEXT) | instid1(VALU_DEP_1)
	v_lshrrev_b32_e32 v1, 16, v1
	v_mad_co_u64_u32 v[96:97], null, ttmp9, 3, v[1:2]
	v_mov_b32_e32 v97, 0
	s_wait_kmcnt 0x0
	s_delay_alu instid0(VALU_DEP_1)
	v_cmpx_gt_u64_e64 s[8:9], v[96:97]
	s_cbranch_execz .LBB0_2
; %bb.1:
	s_load_b128 s[4:7], s[0:1], 0x18
	v_mul_lo_u16 v1, v1, 20
	v_mul_hi_u32 v95, 0xaaaaaaab, v96
	s_mov_b32 s19, 0xbfe2cf23
	s_mov_b32 s16, 0x372fe950
	;; [unrolled: 1-line block ×3, first 2 shown]
	v_sub_nc_u16 v76, v0, v1
	s_mov_b32 s20, 0x9b97f4a8
	s_mov_b32 s21, 0x3fe9e377
	;; [unrolled: 1-line block ×3, first 2 shown]
	v_lshrrev_b32_e32 v95, 1, v95
	v_and_b32_e32 v97, 0xffff, v76
	s_mov_b32 s22, s16
	s_mov_b32 s25, 0xbfe9e377
	;; [unrolled: 1-line block ×3, first 2 shown]
	s_delay_alu instid0(VALU_DEP_1)
	v_or_b32_e32 v98, 0xa0, v97
	s_wait_kmcnt 0x0
	s_load_b128 s[12:15], s[4:5], 0x0
	s_wait_kmcnt 0x0
	v_mad_co_u64_u32 v[0:1], null, s14, v96, 0
	v_mad_co_u64_u32 v[2:3], null, s12, v97, 0
	s_mul_u64 s[2:3], s[12:13], 0x140
	s_delay_alu instid0(VALU_DEP_1) | instskip(SKIP_1) | instid1(VALU_DEP_1)
	v_mad_co_u64_u32 v[4:5], null, s15, v96, v[1:2]
	s_mov_b32 s15, 0xbfee6f0e
	v_mad_co_u64_u32 v[5:6], null, s13, v97, v[3:4]
	v_mov_b32_e32 v1, v4
	s_delay_alu instid0(VALU_DEP_1) | instskip(NEXT) | instid1(VALU_DEP_3)
	v_lshlrev_b64_e32 v[0:1], 4, v[0:1]
	v_mov_b32_e32 v3, v5
	v_mad_co_u64_u32 v[4:5], null, s12, v98, 0
	s_delay_alu instid0(VALU_DEP_2) | instskip(NEXT) | instid1(VALU_DEP_4)
	v_lshlrev_b64_e32 v[2:3], 4, v[2:3]
	v_add_co_u32 v16, vcc_lo, s10, v0
	v_add_co_ci_u32_e32 v17, vcc_lo, s11, v1, vcc_lo
	s_delay_alu instid0(VALU_DEP_4) | instskip(NEXT) | instid1(VALU_DEP_3)
	v_mov_b32_e32 v0, v5
	v_add_co_u32 v8, vcc_lo, v16, v2
	s_wait_alu 0xfffd
	s_delay_alu instid0(VALU_DEP_3) | instskip(NEXT) | instid1(VALU_DEP_3)
	v_add_co_ci_u32_e32 v9, vcc_lo, v17, v3, vcc_lo
	v_mad_co_u64_u32 v[0:1], null, s13, v98, v[0:1]
	s_delay_alu instid0(VALU_DEP_3) | instskip(SKIP_1) | instid1(VALU_DEP_3)
	v_add_co_u32 v20, vcc_lo, v8, s2
	s_wait_alu 0xfffd
	v_add_co_ci_u32_e32 v21, vcc_lo, s3, v9, vcc_lo
	s_load_b128 s[8:11], s[0:1], 0x0
	s_delay_alu instid0(VALU_DEP_2) | instskip(SKIP_1) | instid1(VALU_DEP_2)
	v_add_co_u32 v22, vcc_lo, v20, s2
	s_wait_alu 0xfffd
	v_add_co_ci_u32_e32 v23, vcc_lo, s3, v21, vcc_lo
	v_lshlrev_b32_e32 v100, 4, v97
	s_delay_alu instid0(VALU_DEP_3) | instskip(SKIP_1) | instid1(VALU_DEP_3)
	v_add_co_u32 v24, vcc_lo, v22, s2
	s_wait_alu 0xfffd
	v_add_co_ci_u32_e32 v25, vcc_lo, s3, v23, vcc_lo
	s_load_b64 s[0:1], s[0:1], 0x38
	s_delay_alu instid0(VALU_DEP_2) | instskip(SKIP_1) | instid1(VALU_DEP_2)
	v_add_co_u32 v28, vcc_lo, v24, s2
	s_wait_alu 0xfffd
	v_add_co_ci_u32_e32 v29, vcc_lo, s3, v25, vcc_lo
	s_delay_alu instid0(VALU_DEP_2) | instskip(SKIP_1) | instid1(VALU_DEP_2)
	v_add_co_u32 v32, vcc_lo, v28, s2
	s_wait_alu 0xfffd
	v_add_co_ci_u32_e32 v33, vcc_lo, s3, v29, vcc_lo
	s_wait_kmcnt 0x0
	global_load_b128 v[12:15], v100, s[8:9] offset:640
	v_add_co_u32 v34, vcc_lo, v32, s2
	s_wait_alu 0xfffd
	v_add_co_ci_u32_e32 v35, vcc_lo, s3, v33, vcc_lo
	s_delay_alu instid0(VALU_DEP_2) | instskip(SKIP_1) | instid1(VALU_DEP_2)
	v_add_co_u32 v72, vcc_lo, v34, s2
	s_wait_alu 0xfffd
	v_add_co_ci_u32_e32 v73, vcc_lo, s3, v35, vcc_lo
	s_mov_b32 s2, 0x134454ff
	s_mov_b32 s3, 0x3fee6f0e
	s_wait_alu 0xfffe
	s_mov_b32 s14, s2
	v_mad_co_u64_u32 v[77:78], null, 0x280, s12, v[72:73]
	s_delay_alu instid0(VALU_DEP_1) | instskip(NEXT) | instid1(VALU_DEP_1)
	v_mov_b32_e32 v30, v78
	v_mad_co_u64_u32 v[36:37], null, 0x280, s13, v[30:31]
	v_mov_b32_e32 v5, v0
	global_load_b128 v[0:3], v100, s[8:9]
	s_mov_b32 s12, 0x4755a5e
	s_mov_b32 s13, 0x3fe2cf23
	s_wait_alu 0xfffe
	s_mov_b32 s18, s12
	v_mov_b32_e32 v78, v36
	v_lshlrev_b64_e32 v[10:11], 4, v[4:5]
	global_load_b128 v[4:7], v100, s[8:9] offset:320
	v_add_co_u32 v26, vcc_lo, v16, v10
	s_wait_alu 0xfffd
	v_add_co_ci_u32_e32 v27, vcc_lo, v17, v11, vcc_lo
	global_load_b128 v[16:19], v100, s[8:9] offset:960
	global_load_b128 v[40:43], v[8:9], off
	global_load_b128 v[8:11], v100, s[8:9] offset:2560
	s_clause 0x2
	global_load_b128 v[44:47], v[26:27], off
	global_load_b128 v[48:51], v[20:21], off
	;; [unrolled: 1-line block ×3, first 2 shown]
	global_load_b128 v[20:23], v100, s[8:9] offset:1280
	global_load_b128 v[56:59], v[24:25], off
	global_load_b128 v[24:27], v100, s[8:9] offset:1600
	global_load_b128 v[60:63], v[28:29], off
	;; [unrolled: 2-line block ×3, first 2 shown]
	global_load_b128 v[68:71], v[34:35], off
	global_load_b128 v[36:39], v100, s[8:9] offset:2240
	global_load_b128 v[72:75], v[72:73], off
	global_load_b128 v[32:35], v100, s[8:9] offset:2880
	global_load_b128 v[77:80], v[77:78], off
	s_load_b128 s[4:7], s[6:7], 0x0
	v_cmp_gt_u16_e32 vcc_lo, 10, v76
	s_wait_loadcnt 0xb
	v_mul_f64_e32 v[93:94], v[54:55], v[14:15]
	v_mul_f64_e32 v[101:102], v[52:53], v[14:15]
	s_wait_loadcnt 0x9
	v_mul_f64_e32 v[103:104], v[58:59], v[18:19]
	v_mul_f64_e32 v[81:82], v[42:43], v[2:3]
	;; [unrolled: 1-line block ×8, first 2 shown]
	s_wait_loadcnt 0x7
	v_mul_f64_e32 v[107:108], v[62:63], v[22:23]
	v_mul_f64_e32 v[109:110], v[60:61], v[22:23]
	s_wait_loadcnt 0x5
	v_mul_f64_e32 v[111:112], v[66:67], v[26:27]
	v_mul_f64_e32 v[113:114], v[64:65], v[26:27]
	;; [unrolled: 3-line block ×5, first 2 shown]
	v_fma_f64 v[52:53], v[52:53], v[12:13], v[93:94]
	v_fma_f64 v[54:55], v[54:55], v[12:13], -v[101:102]
	v_fma_f64 v[56:57], v[56:57], v[16:17], v[103:104]
	v_fma_f64 v[40:41], v[40:41], v[0:1], v[81:82]
	v_fma_f64 v[42:43], v[42:43], v[0:1], -v[83:84]
	v_fma_f64 v[44:45], v[44:45], v[8:9], v[85:86]
	v_fma_f64 v[46:47], v[46:47], v[8:9], -v[87:88]
	;; [unrolled: 2-line block ×3, first 2 shown]
	v_fma_f64 v[58:59], v[58:59], v[16:17], -v[105:106]
	v_fma_f64 v[60:61], v[60:61], v[20:21], v[107:108]
	v_fma_f64 v[62:63], v[62:63], v[20:21], -v[109:110]
	v_fma_f64 v[64:65], v[64:65], v[24:25], v[111:112]
	;; [unrolled: 2-line block ×5, first 2 shown]
	v_fma_f64 v[83:84], v[79:80], v[32:33], -v[125:126]
	v_lshl_add_u32 v77, v95, 1, v95
	s_delay_alu instid0(VALU_DEP_1) | instskip(NEXT) | instid1(VALU_DEP_1)
	v_sub_nc_u32_e32 v77, v96, v77
	v_mul_u32_u24_e32 v77, 0xc8, v77
	s_delay_alu instid0(VALU_DEP_1) | instskip(NEXT) | instid1(VALU_DEP_1)
	v_lshlrev_b32_e32 v77, 4, v77
	v_add_nc_u32_e32 v99, v100, v77
	ds_store_b128 v99, v[40:43]
	ds_store_b128 v99, v[44:47] offset:2560
	ds_store_b128 v99, v[48:51] offset:320
	;; [unrolled: 1-line block ×9, first 2 shown]
	global_wb scope:SCOPE_SE
	s_wait_dscnt 0x0
	s_wait_kmcnt 0x0
	s_barrier_signal -1
	s_barrier_wait -1
	global_inv scope:SCOPE_SE
	ds_load_b128 v[40:43], v99 offset:960
	ds_load_b128 v[44:47], v99 offset:1600
	;; [unrolled: 1-line block ×5, first 2 shown]
	s_wait_dscnt 0x3
	v_add_f64_e64 v[111:112], v[40:41], -v[44:45]
	s_wait_dscnt 0x2
	v_add_f64_e32 v[60:61], v[44:45], v[48:49]
	s_wait_dscnt 0x1
	v_add_f64_e32 v[62:63], v[42:43], v[54:55]
	v_add_f64_e32 v[64:65], v[40:41], v[52:53]
	;; [unrolled: 1-line block ×3, first 2 shown]
	v_add_f64_e64 v[82:83], v[42:43], -v[54:55]
	v_add_f64_e64 v[86:87], v[44:45], -v[48:49]
	;; [unrolled: 1-line block ×11, first 2 shown]
	s_wait_dscnt 0x0
	v_add_f64_e32 v[40:41], v[56:57], v[40:41]
	v_add_f64_e32 v[42:43], v[58:59], v[42:43]
	v_fma_f64 v[88:89], v[60:61], -0.5, v[56:57]
	v_fma_f64 v[90:91], v[62:63], -0.5, v[58:59]
	;; [unrolled: 1-line block ×4, first 2 shown]
	ds_load_b128 v[60:63], v99 offset:640
	ds_load_b128 v[64:67], v99 offset:1280
	;; [unrolled: 1-line block ×4, first 2 shown]
	ds_load_b128 v[78:81], v99
	global_wb scope:SCOPE_SE
	s_wait_dscnt 0x0
	s_barrier_signal -1
	s_barrier_wait -1
	global_inv scope:SCOPE_SE
	v_add_f64_e32 v[40:41], v[40:41], v[44:45]
	v_add_f64_e32 v[42:43], v[42:43], v[46:47]
	;; [unrolled: 1-line block ×8, first 2 shown]
	v_add_f64_e64 v[137:138], v[62:63], -v[74:75]
	v_add_f64_e64 v[139:140], v[66:67], -v[70:71]
	;; [unrolled: 1-line block ×4, first 2 shown]
	v_fma_f64 v[125:126], v[82:83], s[2:3], v[88:89]
	v_fma_f64 v[127:128], v[86:87], s[2:3], v[90:91]
	;; [unrolled: 1-line block ×8, first 2 shown]
	v_add_f64_e32 v[40:41], v[40:41], v[48:49]
	v_add_f64_e32 v[42:43], v[42:43], v[50:51]
	v_fma_f64 v[56:57], v[103:104], -0.5, v[78:79]
	v_fma_f64 v[78:79], v[105:106], -0.5, v[78:79]
	;; [unrolled: 1-line block ×4, first 2 shown]
	v_add_f64_e32 v[105:106], v[111:112], v[113:114]
	v_add_f64_e32 v[109:110], v[119:120], v[121:122]
	v_add_f64_e32 v[107:108], v[115:116], v[117:118]
	v_add_f64_e64 v[121:122], v[62:63], -v[66:67]
	v_add_f64_e64 v[62:63], v[66:67], -v[62:63]
	v_add_f64_e32 v[66:67], v[141:142], v[66:67]
	v_add_f64_e64 v[117:118], v[72:73], -v[68:69]
	v_add_f64_e64 v[119:120], v[68:69], -v[72:73]
	v_fma_f64 v[111:112], v[84:85], s[12:13], v[125:126]
	v_fma_f64 v[113:114], v[94:95], s[18:19], v[127:128]
	;; [unrolled: 1-line block ×6, first 2 shown]
	v_add_f64_e32 v[88:89], v[123:124], v[131:132]
	v_fma_f64 v[92:93], v[86:87], s[12:13], v[133:134]
	v_add_f64_e64 v[94:95], v[60:61], -v[64:65]
	v_add_f64_e64 v[60:61], v[64:65], -v[60:61]
	v_add_f64_e32 v[64:65], v[135:136], v[64:65]
	v_add_f64_e64 v[123:124], v[74:75], -v[70:71]
	v_add_f64_e64 v[125:126], v[70:71], -v[74:75]
	v_fma_f64 v[86:87], v[86:87], s[18:19], v[101:102]
	v_add_f64_e32 v[52:53], v[40:41], v[52:53]
	v_add_f64_e32 v[54:55], v[42:43], v[54:55]
	v_fma_f64 v[44:45], v[137:138], s[2:3], v[56:57]
	v_fma_f64 v[46:47], v[137:138], s[14:15], v[56:57]
	;; [unrolled: 1-line block ×8, first 2 shown]
	v_add_f64_e32 v[66:67], v[66:67], v[70:71]
	v_fma_f64 v[101:102], v[105:106], s[16:17], v[111:112]
	v_fma_f64 v[111:112], v[109:110], s[16:17], v[113:114]
	;; [unrolled: 1-line block ×7, first 2 shown]
	v_add_f64_e32 v[94:95], v[94:95], v[117:118]
	v_add_f64_e32 v[60:61], v[60:61], v[119:120]
	;; [unrolled: 1-line block ×5, first 2 shown]
	v_fma_f64 v[44:45], v[139:140], s[12:13], v[44:45]
	v_fma_f64 v[46:47], v[139:140], s[18:19], v[46:47]
	;; [unrolled: 1-line block ×9, first 2 shown]
	v_add_f64_e32 v[66:67], v[66:67], v[74:75]
	v_mul_f64_e32 v[80:81], s[20:21], v[101:102]
	v_mul_f64_e32 v[86:87], s[2:3], v[111:112]
	;; [unrolled: 1-line block ×8, first 2 shown]
	v_add_f64_e32 v[64:65], v[64:65], v[72:73]
	v_fma_f64 v[72:73], v[94:95], s[16:17], v[44:45]
	v_fma_f64 v[74:75], v[94:95], s[16:17], v[46:47]
	;; [unrolled: 1-line block ×8, first 2 shown]
	v_add_f64_e32 v[42:43], v[66:67], v[54:55]
	v_add_f64_e64 v[46:47], v[66:67], -v[54:55]
	v_fma_f64 v[68:69], v[78:79], s[12:13], v[80:81]
	v_fma_f64 v[70:71], v[82:83], s[16:17], v[86:87]
	;; [unrolled: 1-line block ×8, first 2 shown]
	v_add_nc_u32_e32 v78, -10, v97
	v_add_f64_e32 v[40:41], v[64:65], v[52:53]
	v_add_f64_e64 v[44:45], v[64:65], -v[52:53]
	s_wait_alu 0xfffd
	s_delay_alu instid0(VALU_DEP_3)
	v_cndmask_b32_e32 v78, v78, v97, vcc_lo
	v_add_f64_e32 v[48:49], v[72:73], v[68:69]
	v_add_f64_e32 v[52:53], v[94:95], v[70:71]
	;; [unrolled: 1-line block ×8, first 2 shown]
	v_add_f64_e64 v[64:65], v[72:73], -v[68:69]
	v_add_f64_e64 v[66:67], v[119:120], -v[86:87]
	;; [unrolled: 1-line block ×8, first 2 shown]
	v_mul_lo_u16 v83, v76, 10
	v_mul_i32_i24_e32 v84, 0x90, v78
	v_mul_hi_i32_i24_e32 v85, 0x90, v78
	s_delay_alu instid0(VALU_DEP_3) | instskip(NEXT) | instid1(VALU_DEP_3)
	v_and_b32_e32 v86, 0xffff, v83
	v_add_co_u32 v83, vcc_lo, s10, v84
	s_wait_alu 0xfffd
	s_delay_alu instid0(VALU_DEP_3) | instskip(NEXT) | instid1(VALU_DEP_3)
	v_add_co_ci_u32_e32 v84, vcc_lo, s11, v85, vcc_lo
	v_lshl_add_u32 v102, v86, 4, v77
	ds_store_b128 v102, v[40:43]
	ds_store_b128 v102, v[44:47] offset:80
	ds_store_b128 v102, v[48:51] offset:16
	;; [unrolled: 1-line block ×9, first 2 shown]
	global_wb scope:SCOPE_SE
	s_wait_dscnt 0x0
	s_barrier_signal -1
	s_barrier_wait -1
	global_inv scope:SCOPE_SE
	s_clause 0x8
	global_load_b128 v[60:63], v[83:84], off offset:32
	global_load_b128 v[68:71], v[83:84], off offset:64
	;; [unrolled: 1-line block ×4, first 2 shown]
	global_load_b128 v[40:43], v[83:84], off
	global_load_b128 v[56:59], v[83:84], off offset:16
	global_load_b128 v[52:55], v[83:84], off offset:48
	;; [unrolled: 1-line block ×4, first 2 shown]
	ds_load_b128 v[79:82], v99 offset:960
	ds_load_b128 v[83:86], v99 offset:1600
	;; [unrolled: 1-line block ×6, first 2 shown]
	v_cmp_lt_u16_e32 vcc_lo, 9, v76
	s_wait_alu 0xfffd
	v_cndmask_b32_e64 v76, 0, 0x64, vcc_lo
	s_delay_alu instid0(VALU_DEP_1) | instskip(NEXT) | instid1(VALU_DEP_1)
	v_add_nc_u32_e32 v76, v78, v76
	v_lshl_add_u32 v101, v76, 4, v77
	s_wait_loadcnt_dscnt 0x805
	v_mul_f64_e32 v[113:114], v[79:80], v[62:63]
	s_wait_loadcnt_dscnt 0x704
	v_mul_f64_e32 v[115:116], v[85:86], v[70:71]
	v_mul_f64_e32 v[117:118], v[83:84], v[70:71]
	s_wait_loadcnt_dscnt 0x603
	v_mul_f64_e32 v[119:120], v[87:88], v[66:67]
	s_wait_loadcnt_dscnt 0x502
	v_mul_f64_e32 v[121:122], v[91:92], v[74:75]
	v_mul_f64_e32 v[125:126], v[89:90], v[66:67]
	;; [unrolled: 1-line block ×4, first 2 shown]
	s_wait_loadcnt_dscnt 0x401
	v_mul_f64_e32 v[127:128], v[105:106], v[42:43]
	v_mul_f64_e32 v[129:130], v[103:104], v[42:43]
	v_fma_f64 v[113:114], v[81:82], v[60:61], v[113:114]
	v_fma_f64 v[115:116], v[83:84], v[68:69], -v[115:116]
	v_fma_f64 v[117:118], v[85:86], v[68:69], v[117:118]
	v_fma_f64 v[119:120], v[89:90], v[64:65], v[119:120]
	;; [unrolled: 1-line block ×3, first 2 shown]
	v_fma_f64 v[121:122], v[87:88], v[64:65], -v[125:126]
	v_fma_f64 v[111:112], v[79:80], v[60:61], -v[111:112]
	;; [unrolled: 1-line block ×3, first 2 shown]
	ds_load_b128 v[79:82], v99 offset:1280
	ds_load_b128 v[83:86], v99 offset:1920
	;; [unrolled: 1-line block ×3, first 2 shown]
	s_wait_loadcnt_dscnt 0x303
	v_mul_f64_e32 v[123:124], v[109:110], v[58:59]
	v_mul_f64_e32 v[125:126], v[107:108], v[58:59]
	v_fma_f64 v[103:104], v[103:104], v[40:41], -v[127:128]
	v_fma_f64 v[105:106], v[105:106], v[40:41], v[129:130]
	s_wait_loadcnt_dscnt 0x202
	v_mul_f64_e32 v[131:132], v[81:82], v[54:55]
	v_mul_f64_e32 v[133:134], v[79:80], v[54:55]
	s_wait_loadcnt_dscnt 0x101
	v_mul_f64_e32 v[135:136], v[85:86], v[50:51]
	s_wait_loadcnt_dscnt 0x0
	v_mul_f64_e32 v[137:138], v[89:90], v[46:47]
	v_mul_f64_e32 v[139:140], v[83:84], v[50:51]
	v_mul_f64_e32 v[141:142], v[87:88], v[46:47]
	v_add_f64_e64 v[159:160], v[113:114], -v[117:118]
	v_add_f64_e32 v[127:128], v[117:118], v[119:120]
	v_add_f64_e32 v[129:130], v[113:114], v[93:94]
	;; [unrolled: 1-line block ×3, first 2 shown]
	v_add_f64_e64 v[151:152], v[111:112], -v[115:116]
	v_add_f64_e32 v[143:144], v[111:112], v[91:92]
	v_add_f64_e64 v[153:154], v[91:92], -v[121:122]
	v_fma_f64 v[107:108], v[107:108], v[56:57], -v[123:124]
	v_fma_f64 v[109:110], v[109:110], v[56:57], v[125:126]
	v_add_f64_e64 v[155:156], v[115:116], -v[111:112]
	v_add_f64_e64 v[157:158], v[121:122], -v[91:92]
	;; [unrolled: 1-line block ×5, first 2 shown]
	v_fma_f64 v[123:124], v[79:80], v[52:53], -v[131:132]
	v_fma_f64 v[125:126], v[81:82], v[52:53], v[133:134]
	v_fma_f64 v[83:84], v[83:84], v[48:49], -v[135:136]
	v_fma_f64 v[87:88], v[87:88], v[44:45], -v[137:138]
	v_fma_f64 v[85:86], v[85:86], v[48:49], v[139:140]
	v_fma_f64 v[89:90], v[89:90], v[44:45], v[141:142]
	v_add_f64_e64 v[131:132], v[113:114], -v[93:94]
	v_add_f64_e64 v[135:136], v[111:112], -v[91:92]
	;; [unrolled: 1-line block ×4, first 2 shown]
	ds_load_b128 v[79:82], v99
	global_wb scope:SCOPE_SE
	s_wait_dscnt 0x0
	s_barrier_signal -1
	s_barrier_wait -1
	global_inv scope:SCOPE_SE
	v_fma_f64 v[127:128], v[127:128], -0.5, v[105:106]
	v_fma_f64 v[129:130], v[129:130], -0.5, v[105:106]
	;; [unrolled: 1-line block ×3, first 2 shown]
	v_add_f64_e32 v[105:106], v[105:106], v[113:114]
	v_fma_f64 v[139:140], v[143:144], -0.5, v[103:104]
	v_add_f64_e32 v[103:104], v[103:104], v[111:112]
	v_add_f64_e32 v[175:176], v[79:80], v[107:108]
	v_add_f64_e32 v[181:182], v[81:82], v[109:110]
	v_add_f64_e32 v[143:144], v[123:124], v[83:84]
	v_add_f64_e32 v[145:146], v[107:108], v[87:88]
	v_add_f64_e32 v[147:148], v[125:126], v[85:86]
	v_add_f64_e32 v[149:150], v[109:110], v[89:90]
	v_add_f64_e64 v[177:178], v[109:110], -v[89:90]
	v_add_f64_e64 v[183:184], v[107:108], -v[87:88]
	;; [unrolled: 1-line block ×4, first 2 shown]
	v_fma_f64 v[167:168], v[135:136], s[14:15], v[127:128]
	v_fma_f64 v[169:170], v[137:138], s[2:3], v[129:130]
	;; [unrolled: 1-line block ×8, first 2 shown]
	v_add_f64_e32 v[103:104], v[103:104], v[115:116]
	v_add_f64_e32 v[105:106], v[105:106], v[117:118]
	v_fma_f64 v[111:112], v[143:144], -0.5, v[79:80]
	v_fma_f64 v[79:80], v[145:146], -0.5, v[79:80]
	;; [unrolled: 1-line block ×4, first 2 shown]
	v_add_f64_e32 v[143:144], v[151:152], v[153:154]
	v_add_f64_e32 v[145:146], v[155:156], v[157:158]
	;; [unrolled: 1-line block ×4, first 2 shown]
	v_add_f64_e64 v[159:160], v[89:90], -v[85:86]
	v_add_f64_e64 v[161:162], v[85:86], -v[89:90]
	v_fma_f64 v[151:152], v[137:138], s[18:19], v[167:168]
	v_fma_f64 v[153:154], v[135:136], s[18:19], v[169:170]
	;; [unrolled: 1-line block ×8, first 2 shown]
	v_add_f64_e64 v[135:136], v[107:108], -v[123:124]
	v_add_f64_e64 v[107:108], v[123:124], -v[107:108]
	v_add_f64_e64 v[141:142], v[109:110], -v[125:126]
	v_add_f64_e64 v[109:110], v[125:126], -v[109:110]
	v_add_f64_e32 v[123:124], v[175:176], v[123:124]
	v_add_f64_e32 v[125:126], v[181:182], v[125:126]
	v_add_f64_e64 v[137:138], v[87:88], -v[83:84]
	v_add_f64_e64 v[139:140], v[83:84], -v[87:88]
	v_add_f64_e32 v[103:104], v[103:104], v[121:122]
	v_add_f64_e32 v[105:106], v[105:106], v[119:120]
	v_fma_f64 v[115:116], v[177:178], s[2:3], v[111:112]
	v_fma_f64 v[111:112], v[177:178], s[14:15], v[111:112]
	;; [unrolled: 1-line block ×16, first 2 shown]
	v_add_f64_e32 v[109:110], v[109:110], v[161:162]
	v_add_f64_e32 v[83:84], v[123:124], v[83:84]
	;; [unrolled: 1-line block ×6, first 2 shown]
	v_fma_f64 v[115:116], v[179:180], s[12:13], v[115:116]
	v_fma_f64 v[111:112], v[179:180], s[18:19], v[111:112]
	;; [unrolled: 1-line block ×8, first 2 shown]
	v_mul_f64_e32 v[123:124], s[12:13], v[151:152]
	v_mul_f64_e32 v[125:126], s[2:3], v[153:154]
	;; [unrolled: 1-line block ×8, first 2 shown]
	v_add_f64_e32 v[83:84], v[83:84], v[87:88]
	v_add_f64_e32 v[85:86], v[85:86], v[89:90]
	;; [unrolled: 1-line block ×4, first 2 shown]
	v_fma_f64 v[115:116], v[135:136], s[16:17], v[115:116]
	v_fma_f64 v[135:136], v[135:136], s[16:17], v[111:112]
	;; [unrolled: 1-line block ×16, first 2 shown]
	v_add_f64_e32 v[79:80], v[83:84], v[87:88]
	v_add_f64_e32 v[81:82], v[85:86], v[89:90]
	v_add_f64_e64 v[83:84], v[83:84], -v[87:88]
	v_add_f64_e64 v[85:86], v[85:86], -v[89:90]
	v_add_f64_e32 v[87:88], v[115:116], v[111:112]
	v_add_f64_e32 v[91:92], v[117:118], v[113:114]
	;; [unrolled: 1-line block ×8, first 2 shown]
	v_add_f64_e64 v[111:112], v[115:116], -v[111:112]
	v_add_f64_e64 v[115:116], v[117:118], -v[113:114]
	;; [unrolled: 1-line block ×8, first 2 shown]
	ds_store_b128 v101, v[79:82]
	ds_store_b128 v101, v[83:86] offset:800
	ds_store_b128 v101, v[87:90] offset:160
	;; [unrolled: 1-line block ×9, first 2 shown]
	global_wb scope:SCOPE_SE
	s_wait_dscnt 0x0
	s_barrier_signal -1
	s_barrier_wait -1
	global_inv scope:SCOPE_SE
	s_clause 0x4
	global_load_b128 v[76:79], v100, s[10:11] offset:1440
	global_load_b128 v[80:83], v100, s[10:11] offset:1760
	;; [unrolled: 1-line block ×5, first 2 shown]
	ds_load_b128 v[103:106], v99 offset:1600
	ds_load_b128 v[107:110], v99 offset:1920
	;; [unrolled: 1-line block ×5, first 2 shown]
	s_wait_loadcnt_dscnt 0x404
	v_mul_f64_e32 v[123:124], v[105:106], v[78:79]
	v_mul_f64_e32 v[125:126], v[103:104], v[78:79]
	s_wait_loadcnt_dscnt 0x303
	v_mul_f64_e32 v[127:128], v[109:110], v[82:83]
	v_mul_f64_e32 v[129:130], v[107:108], v[82:83]
	;; [unrolled: 3-line block ×5, first 2 shown]
	v_fma_f64 v[123:124], v[103:104], v[76:77], -v[123:124]
	v_fma_f64 v[125:126], v[105:106], v[76:77], v[125:126]
	v_fma_f64 v[127:128], v[107:108], v[80:81], -v[127:128]
	v_fma_f64 v[129:130], v[109:110], v[80:81], v[129:130]
	;; [unrolled: 2-line block ×5, first 2 shown]
	ds_load_b128 v[103:106], v99
	ds_load_b128 v[107:110], v99 offset:320
	ds_load_b128 v[111:114], v99 offset:640
	;; [unrolled: 1-line block ×4, first 2 shown]
	s_wait_dscnt 0x4
	v_add_f64_e64 v[123:124], v[103:104], -v[123:124]
	v_add_f64_e64 v[125:126], v[105:106], -v[125:126]
	s_wait_dscnt 0x3
	v_add_f64_e64 v[127:128], v[107:108], -v[127:128]
	v_add_f64_e64 v[129:130], v[109:110], -v[129:130]
	;; [unrolled: 3-line block ×5, first 2 shown]
	v_fma_f64 v[103:104], v[103:104], 2.0, -v[123:124]
	v_fma_f64 v[105:106], v[105:106], 2.0, -v[125:126]
	;; [unrolled: 1-line block ×10, first 2 shown]
	ds_store_b128 v99, v[127:130] offset:1920
	ds_store_b128 v99, v[131:134] offset:2240
	;; [unrolled: 1-line block ×5, first 2 shown]
	ds_store_b128 v99, v[103:106]
	ds_store_b128 v99, v[107:110] offset:320
	ds_store_b128 v99, v[111:114] offset:640
	;; [unrolled: 1-line block ×4, first 2 shown]
	global_wb scope:SCOPE_SE
	s_wait_dscnt 0x0
	s_barrier_signal -1
	s_barrier_wait -1
	global_inv scope:SCOPE_SE
	global_load_b128 v[103:106], v100, s[8:9] offset:3200
	s_add_nc_u64 s[8:9], s[8:9], 0xc80
	s_clause 0x8
	global_load_b128 v[107:110], v100, s[8:9] offset:320
	global_load_b128 v[111:114], v100, s[8:9] offset:640
	;; [unrolled: 1-line block ×9, first 2 shown]
	ds_load_b128 v[143:146], v99
	ds_load_b128 v[147:150], v99 offset:320
	ds_load_b128 v[151:154], v99 offset:640
	;; [unrolled: 1-line block ×9, first 2 shown]
	s_wait_loadcnt_dscnt 0x808
	v_mul_f64_e32 v[185:186], v[149:150], v[109:110]
	v_mul_f64_e32 v[109:110], v[147:148], v[109:110]
	s_wait_loadcnt_dscnt 0x707
	v_mul_f64_e32 v[187:188], v[153:154], v[113:114]
	v_mul_f64_e32 v[113:114], v[151:152], v[113:114]
	s_wait_loadcnt_dscnt 0x606
	v_mul_f64_e32 v[189:190], v[157:158], v[117:118]
	v_mul_f64_e32 v[183:184], v[145:146], v[105:106]
	v_mul_f64_e32 v[105:106], v[143:144], v[105:106]
	v_mul_f64_e32 v[117:118], v[155:156], v[117:118]
	s_wait_loadcnt_dscnt 0x505
	v_mul_f64_e32 v[191:192], v[161:162], v[121:122]
	v_mul_f64_e32 v[121:122], v[159:160], v[121:122]
	s_wait_loadcnt_dscnt 0x303
	v_mul_f64_e32 v[193:194], v[169:170], v[129:130]
	v_mul_f64_e32 v[129:130], v[167:168], v[129:130]
	v_fma_f64 v[143:144], v[143:144], v[103:104], -v[183:184]
	v_mul_f64_e32 v[183:184], v[165:166], v[125:126]
	v_mul_f64_e32 v[125:126], v[163:164], v[125:126]
	v_fma_f64 v[145:146], v[145:146], v[103:104], v[105:106]
	v_fma_f64 v[103:104], v[147:148], v[107:108], -v[185:186]
	s_wait_loadcnt_dscnt 0x202
	v_mul_f64_e32 v[147:148], v[173:174], v[133:134]
	v_mul_f64_e32 v[133:134], v[171:172], v[133:134]
	v_fma_f64 v[105:106], v[149:150], v[107:108], v[109:110]
	s_wait_loadcnt_dscnt 0x101
	v_mul_f64_e32 v[149:150], v[177:178], v[137:138]
	v_mul_f64_e32 v[137:138], v[175:176], v[137:138]
	v_fma_f64 v[107:108], v[151:152], v[111:112], -v[187:188]
	s_wait_loadcnt_dscnt 0x0
	v_mul_f64_e32 v[151:152], v[181:182], v[141:142]
	v_mul_f64_e32 v[141:142], v[179:180], v[141:142]
	v_fma_f64 v[109:110], v[153:154], v[111:112], v[113:114]
	v_fma_f64 v[111:112], v[155:156], v[115:116], -v[189:190]
	v_fma_f64 v[113:114], v[157:158], v[115:116], v[117:118]
	v_fma_f64 v[115:116], v[159:160], v[119:120], -v[191:192]
	;; [unrolled: 2-line block ×7, first 2 shown]
	v_fma_f64 v[137:138], v[181:182], v[139:140], v[141:142]
	ds_store_b128 v99, v[143:146]
	ds_store_b128 v99, v[103:106] offset:320
	ds_store_b128 v99, v[107:110] offset:640
	;; [unrolled: 1-line block ×9, first 2 shown]
	global_wb scope:SCOPE_SE
	s_wait_dscnt 0x0
	s_barrier_signal -1
	s_barrier_wait -1
	global_inv scope:SCOPE_SE
	ds_load_b128 v[103:106], v99 offset:960
	ds_load_b128 v[107:110], v99 offset:1600
	;; [unrolled: 1-line block ×6, first 2 shown]
	s_wait_dscnt 0x4
	v_add_f64_e64 v[165:166], v[103:104], -v[107:108]
	s_wait_dscnt 0x3
	v_add_f64_e32 v[127:128], v[109:110], v[113:114]
	v_add_f64_e32 v[131:132], v[107:108], v[111:112]
	s_wait_dscnt 0x2
	v_add_f64_e32 v[129:130], v[105:106], v[117:118]
	v_add_f64_e32 v[143:144], v[103:104], v[115:116]
	v_add_f64_e64 v[145:146], v[103:104], -v[115:116]
	v_add_f64_e64 v[153:154], v[105:106], -v[117:118]
	;; [unrolled: 1-line block ×9, first 2 shown]
	s_wait_dscnt 0x1
	v_add_f64_e32 v[105:106], v[121:122], v[105:106]
	v_add_f64_e64 v[195:196], v[111:112], -v[115:116]
	v_fma_f64 v[149:150], v[127:128], -0.5, v[121:122]
	v_fma_f64 v[155:156], v[131:132], -0.5, v[119:120]
	;; [unrolled: 1-line block ×3, first 2 shown]
	ds_load_b128 v[127:130], v99 offset:1280
	ds_load_b128 v[131:134], v99 offset:1920
	;; [unrolled: 1-line block ×3, first 2 shown]
	ds_load_b128 v[139:142], v99
	v_fma_f64 v[143:144], v[143:144], -0.5, v[119:120]
	v_add_f64_e32 v[119:120], v[119:120], v[103:104]
	v_add_f64_e64 v[103:104], v[107:108], -v[103:104]
	global_wb scope:SCOPE_SE
	s_wait_dscnt 0x0
	s_barrier_signal -1
	s_barrier_wait -1
	global_inv scope:SCOPE_SE
	v_add_f64_e32 v[105:106], v[105:106], v[109:110]
	v_add_f64_e32 v[157:158], v[127:128], v[131:132]
	;; [unrolled: 1-line block ×7, first 2 shown]
	v_add_f64_e64 v[187:188], v[125:126], -v[137:138]
	v_add_f64_e64 v[189:190], v[129:130], -v[133:134]
	;; [unrolled: 1-line block ×3, first 2 shown]
	v_fma_f64 v[179:180], v[145:146], s[2:3], v[149:150]
	v_fma_f64 v[149:150], v[145:146], s[14:15], v[149:150]
	;; [unrolled: 1-line block ×6, first 2 shown]
	v_add_f64_e32 v[107:108], v[119:120], v[107:108]
	v_add_f64_e32 v[103:104], v[103:104], v[195:196]
	;; [unrolled: 1-line block ×3, first 2 shown]
	v_fma_f64 v[121:122], v[157:158], -0.5, v[139:140]
	v_add_f64_e64 v[157:158], v[127:128], -v[131:132]
	v_fma_f64 v[139:140], v[159:160], -0.5, v[139:140]
	v_fma_f64 v[159:160], v[161:162], -0.5, v[141:142]
	;; [unrolled: 1-line block ×3, first 2 shown]
	v_add_f64_e32 v[161:162], v[165:166], v[167:168]
	v_add_f64_e32 v[163:164], v[169:170], v[171:172]
	v_fma_f64 v[167:168], v[177:178], s[2:3], v[143:144]
	v_fma_f64 v[143:144], v[177:178], s[14:15], v[143:144]
	v_add_f64_e32 v[165:166], v[173:174], v[175:176]
	v_add_f64_e64 v[173:174], v[135:136], -v[131:132]
	v_add_f64_e64 v[175:176], v[131:132], -v[135:136]
	v_fma_f64 v[169:170], v[147:148], s[12:13], v[179:180]
	v_fma_f64 v[147:148], v[147:148], s[18:19], v[149:150]
	;; [unrolled: 1-line block ×5, first 2 shown]
	v_add_f64_e64 v[151:152], v[123:124], -v[127:128]
	v_add_f64_e64 v[123:124], v[127:128], -v[123:124]
	;; [unrolled: 1-line block ×4, first 2 shown]
	v_add_f64_e32 v[127:128], v[185:186], v[127:128]
	v_add_f64_e32 v[129:130], v[191:192], v[129:130]
	v_add_f64_e64 v[181:182], v[137:138], -v[133:134]
	v_fma_f64 v[155:156], v[177:178], s[12:13], v[155:156]
	v_add_f64_e64 v[183:184], v[133:134], -v[137:138]
	v_add_f64_e32 v[107:108], v[107:108], v[111:112]
	v_fma_f64 v[109:110], v[187:188], s[14:15], v[121:122]
	v_fma_f64 v[119:120], v[187:188], s[2:3], v[121:122]
	;; [unrolled: 1-line block ×15, first 2 shown]
	v_add_f64_e32 v[151:152], v[151:152], v[173:174]
	v_add_f64_e32 v[123:124], v[123:124], v[175:176]
	;; [unrolled: 1-line block ×8, first 2 shown]
	v_fma_f64 v[109:110], v[189:190], s[18:19], v[109:110]
	v_fma_f64 v[111:112], v[189:190], s[12:13], v[119:120]
	;; [unrolled: 1-line block ×11, first 2 shown]
	v_mul_f64_e32 v[143:144], s[18:19], v[153:154]
	v_mul_f64_e32 v[161:162], s[18:19], v[147:148]
	;; [unrolled: 1-line block ×8, first 2 shown]
	v_add_f64_e32 v[127:128], v[127:128], v[135:136]
	v_add_f64_e32 v[129:130], v[129:130], v[137:138]
	v_fma_f64 v[135:136], v[151:152], s[16:17], v[109:110]
	v_fma_f64 v[137:138], v[151:152], s[16:17], v[111:112]
	;; [unrolled: 1-line block ×16, first 2 shown]
	v_add_f64_e32 v[103:104], v[127:128], v[107:108]
	v_add_f64_e32 v[105:106], v[129:130], v[115:116]
	v_add_f64_e64 v[107:108], v[127:128], -v[107:108]
	v_add_f64_e64 v[109:110], v[129:130], -v[115:116]
	v_add_f64_e32 v[111:112], v[135:136], v[131:132]
	v_add_f64_e32 v[123:124], v[137:138], v[149:150]
	;; [unrolled: 1-line block ×8, first 2 shown]
	v_add_f64_e64 v[127:128], v[135:136], -v[131:132]
	v_add_f64_e64 v[129:130], v[171:172], -v[153:154]
	;; [unrolled: 1-line block ×8, first 2 shown]
	ds_store_b128 v102, v[103:106]
	ds_store_b128 v102, v[107:110] offset:80
	ds_store_b128 v102, v[111:114] offset:16
	;; [unrolled: 1-line block ×9, first 2 shown]
	global_wb scope:SCOPE_SE
	s_wait_dscnt 0x0
	s_barrier_signal -1
	s_barrier_wait -1
	global_inv scope:SCOPE_SE
	ds_load_b128 v[102:105], v99 offset:960
	ds_load_b128 v[106:109], v99 offset:1600
	;; [unrolled: 1-line block ×6, first 2 shown]
	s_wait_dscnt 0x5
	v_mul_f64_e32 v[126:127], v[62:63], v[102:103]
	s_wait_dscnt 0x4
	v_mul_f64_e32 v[128:129], v[70:71], v[106:107]
	;; [unrolled: 2-line block ×5, first 2 shown]
	v_mul_f64_e32 v[62:63], v[62:63], v[104:105]
	v_mul_f64_e32 v[70:71], v[70:71], v[108:109]
	;; [unrolled: 1-line block ×4, first 2 shown]
	s_wait_dscnt 0x0
	v_mul_f64_e32 v[140:141], v[58:59], v[124:125]
	v_mul_f64_e32 v[58:59], v[58:59], v[122:123]
	;; [unrolled: 1-line block ×3, first 2 shown]
	v_fma_f64 v[104:105], v[60:61], v[104:105], -v[126:127]
	v_fma_f64 v[108:109], v[68:69], v[108:109], -v[128:129]
	;; [unrolled: 1-line block ×4, first 2 shown]
	ds_load_b128 v[126:129], v99 offset:1280
	ds_load_b128 v[130:133], v99 offset:1920
	;; [unrolled: 1-line block ×3, first 2 shown]
	v_fma_f64 v[60:61], v[60:61], v[102:103], v[62:63]
	v_fma_f64 v[62:63], v[68:69], v[106:107], v[70:71]
	;; [unrolled: 1-line block ×4, first 2 shown]
	v_fma_f64 v[68:69], v[40:41], v[120:121], -v[138:139]
	v_fma_f64 v[74:75], v[56:57], v[122:123], v[140:141]
	v_fma_f64 v[56:57], v[56:57], v[124:125], -v[58:59]
	s_wait_dscnt 0x2
	v_mul_f64_e32 v[142:143], v[54:55], v[128:129]
	v_mul_f64_e32 v[54:55], v[54:55], v[126:127]
	s_wait_dscnt 0x1
	v_mul_f64_e32 v[144:145], v[50:51], v[132:133]
	s_wait_dscnt 0x0
	v_mul_f64_e32 v[146:147], v[46:47], v[136:137]
	v_mul_f64_e32 v[50:51], v[50:51], v[130:131]
	;; [unrolled: 1-line block ×3, first 2 shown]
	v_add_f64_e32 v[70:71], v[108:109], v[112:113]
	v_add_f64_e32 v[72:73], v[104:105], v[116:117]
	v_add_f64_e64 v[150:151], v[60:61], -v[62:63]
	v_add_f64_e64 v[114:115], v[62:63], -v[64:65]
	v_add_f64_e32 v[106:107], v[60:61], v[66:67]
	v_add_f64_e64 v[110:111], v[60:61], -v[66:67]
	v_add_f64_e64 v[152:153], v[66:67], -v[64:65]
	v_add_f64_e64 v[154:155], v[64:65], -v[66:67]
	v_fma_f64 v[58:59], v[52:53], v[126:127], v[142:143]
	v_fma_f64 v[52:53], v[52:53], v[128:129], -v[54:55]
	v_fma_f64 v[54:55], v[48:49], v[130:131], v[144:145]
	v_fma_f64 v[102:103], v[44:45], v[134:135], v[146:147]
	v_fma_f64 v[48:49], v[48:49], v[132:133], -v[50:51]
	v_fma_f64 v[44:45], v[44:45], v[136:137], -v[46:47]
	v_fma_f64 v[46:47], v[40:41], v[118:119], v[42:43]
	v_add_f64_e32 v[50:51], v[62:63], v[64:65]
	v_add_f64_e64 v[126:127], v[104:105], -v[116:117]
	v_add_f64_e64 v[128:129], v[104:105], -v[108:109]
	;; [unrolled: 1-line block ×6, first 2 shown]
	ds_load_b128 v[40:43], v99
	global_wb scope:SCOPE_SE
	s_wait_dscnt 0x0
	s_barrier_signal -1
	s_barrier_wait -1
	v_fma_f64 v[70:71], v[70:71], -0.5, v[68:69]
	v_fma_f64 v[72:73], v[72:73], -0.5, v[68:69]
	v_add_f64_e32 v[68:69], v[68:69], v[104:105]
	global_inv scope:SCOPE_SE
	v_add_f64_e32 v[142:143], v[40:41], v[74:75]
	v_add_f64_e32 v[148:149], v[42:43], v[56:57]
	v_add_f64_e64 v[156:157], v[56:57], -v[52:53]
	v_add_f64_e32 v[118:119], v[58:59], v[54:55]
	v_add_f64_e32 v[120:121], v[74:75], v[102:103]
	;; [unrolled: 1-line block ×4, first 2 shown]
	v_fma_f64 v[106:107], v[106:107], -0.5, v[46:47]
	v_fma_f64 v[50:51], v[50:51], -0.5, v[46:47]
	v_add_f64_e32 v[46:47], v[46:47], v[60:61]
	v_add_f64_e64 v[144:145], v[56:57], -v[44:45]
	v_add_f64_e64 v[60:61], v[62:63], -v[60:61]
	;; [unrolled: 1-line block ×6, first 2 shown]
	v_fma_f64 v[138:139], v[110:111], s[2:3], v[70:71]
	v_fma_f64 v[140:141], v[114:115], s[14:15], v[72:73]
	;; [unrolled: 1-line block ×4, first 2 shown]
	v_add_f64_e32 v[68:69], v[68:69], v[108:109]
	v_add_f64_e32 v[52:53], v[148:149], v[52:53]
	v_fma_f64 v[104:105], v[118:119], -0.5, v[40:41]
	v_add_f64_e64 v[118:119], v[74:75], -v[102:103]
	v_fma_f64 v[40:41], v[120:121], -0.5, v[40:41]
	v_add_f64_e64 v[120:121], v[58:59], -v[54:55]
	v_fma_f64 v[122:123], v[122:123], -0.5, v[42:43]
	v_fma_f64 v[42:43], v[124:125], -0.5, v[42:43]
	v_add_f64_e32 v[124:125], v[128:129], v[130:131]
	v_add_f64_e32 v[128:129], v[132:133], v[134:135]
	v_fma_f64 v[130:131], v[126:127], s[14:15], v[50:51]
	v_fma_f64 v[50:51], v[126:127], s[2:3], v[50:51]
	;; [unrolled: 1-line block ×4, first 2 shown]
	v_add_f64_e32 v[46:47], v[46:47], v[62:63]
	v_add_f64_e32 v[62:63], v[150:151], v[152:153]
	;; [unrolled: 1-line block ×4, first 2 shown]
	v_fma_f64 v[134:135], v[114:115], s[12:13], v[138:139]
	v_fma_f64 v[138:139], v[110:111], s[12:13], v[140:141]
	;; [unrolled: 1-line block ×4, first 2 shown]
	v_add_f64_e64 v[110:111], v[74:75], -v[58:59]
	v_add_f64_e64 v[74:75], v[58:59], -v[74:75]
	v_add_f64_e32 v[58:59], v[142:143], v[58:59]
	v_add_f64_e64 v[114:115], v[102:103], -v[54:55]
	v_add_f64_e64 v[140:141], v[54:55], -v[102:103]
	v_add_f64_e32 v[48:49], v[52:53], v[48:49]
	v_add_f64_e32 v[52:53], v[68:69], v[112:113]
	v_fma_f64 v[108:109], v[144:145], s[14:15], v[104:105]
	v_fma_f64 v[104:105], v[144:145], s[2:3], v[104:105]
	;; [unrolled: 1-line block ×12, first 2 shown]
	v_add_f64_e32 v[46:47], v[46:47], v[64:65]
	v_fma_f64 v[126:127], v[124:125], s[16:17], v[134:135]
	v_fma_f64 v[134:135], v[128:129], s[16:17], v[138:139]
	;; [unrolled: 1-line block ×4, first 2 shown]
	v_add_f64_e32 v[54:55], v[58:59], v[54:55]
	v_add_f64_e32 v[110:111], v[110:111], v[114:115]
	v_add_f64_e32 v[114:115], v[156:157], v[158:159]
	v_add_f64_e32 v[74:75], v[74:75], v[140:141]
	v_add_f64_e32 v[48:49], v[48:49], v[44:45]
	v_fma_f64 v[58:59], v[146:147], s[18:19], v[108:109]
	v_fma_f64 v[64:65], v[146:147], s[12:13], v[104:105]
	;; [unrolled: 1-line block ×12, first 2 shown]
	v_add_f64_e32 v[44:45], v[46:47], v[66:67]
	v_add_f64_e32 v[46:47], v[52:53], v[116:117]
	v_mul_f64_e32 v[106:107], s[18:19], v[126:127]
	v_mul_f64_e32 v[126:127], s[20:21], v[126:127]
	;; [unrolled: 1-line block ×8, first 2 shown]
	v_add_f64_e32 v[54:55], v[54:55], v[102:103]
	v_fma_f64 v[66:67], v[110:111], s[16:17], v[58:59]
	v_fma_f64 v[102:103], v[110:111], s[16:17], v[64:65]
	;; [unrolled: 1-line block ×8, first 2 shown]
	v_add_f64_e32 v[42:43], v[48:49], v[46:47]
	v_add_f64_e64 v[46:47], v[48:49], -v[46:47]
	v_fma_f64 v[64:65], v[118:119], s[20:21], v[106:107]
	v_fma_f64 v[118:119], v[118:119], s[12:13], v[126:127]
	;; [unrolled: 1-line block ×8, first 2 shown]
	v_add_f64_e32 v[40:41], v[54:55], v[44:45]
	v_add_f64_e64 v[44:45], v[54:55], -v[44:45]
	s_mov_b32 s2, 0x47ae147b
	s_mov_b32 s3, 0x3f747ae1
	v_add_f64_e32 v[48:49], v[66:67], v[64:65]
	v_add_f64_e32 v[50:51], v[104:105], v[118:119]
	;; [unrolled: 1-line block ×8, first 2 shown]
	v_add_f64_e64 v[64:65], v[66:67], -v[64:65]
	v_add_f64_e64 v[66:67], v[104:105], -v[118:119]
	;; [unrolled: 1-line block ×8, first 2 shown]
	ds_store_b128 v101, v[40:43]
	ds_store_b128 v101, v[44:47] offset:800
	ds_store_b128 v101, v[48:51] offset:160
	;; [unrolled: 1-line block ×9, first 2 shown]
	global_wb scope:SCOPE_SE
	s_wait_dscnt 0x0
	s_barrier_signal -1
	s_barrier_wait -1
	global_inv scope:SCOPE_SE
	ds_load_b128 v[40:43], v99 offset:1600
	ds_load_b128 v[44:47], v99 offset:1920
	;; [unrolled: 1-line block ×5, first 2 shown]
	s_wait_dscnt 0x4
	v_mul_f64_e32 v[60:61], v[78:79], v[42:43]
	v_mul_f64_e32 v[62:63], v[78:79], v[40:41]
	s_wait_dscnt 0x3
	v_mul_f64_e32 v[64:65], v[82:83], v[46:47]
	v_mul_f64_e32 v[66:67], v[82:83], v[44:45]
	;; [unrolled: 3-line block ×5, first 2 shown]
	v_fma_f64 v[60:61], v[76:77], v[40:41], v[60:61]
	v_fma_f64 v[62:63], v[76:77], v[42:43], -v[62:63]
	v_fma_f64 v[64:65], v[80:81], v[44:45], v[64:65]
	v_fma_f64 v[66:67], v[80:81], v[46:47], -v[66:67]
	;; [unrolled: 2-line block ×5, first 2 shown]
	ds_load_b128 v[40:43], v99
	ds_load_b128 v[44:47], v99 offset:320
	ds_load_b128 v[48:51], v99 offset:640
	;; [unrolled: 1-line block ×4, first 2 shown]
	v_mad_co_u64_u32 v[80:81], null, s6, v96, 0
	v_mad_co_u64_u32 v[82:83], null, s4, v97, 0
	s_delay_alu instid0(VALU_DEP_1) | instskip(NEXT) | instid1(VALU_DEP_1)
	v_mad_co_u64_u32 v[84:85], null, s7, v96, v[81:82]
	v_mov_b32_e32 v81, v84
	s_delay_alu instid0(VALU_DEP_3)
	v_mad_co_u64_u32 v[85:86], null, s5, v97, v[83:84]
	s_wait_dscnt 0x4
	v_add_f64_e64 v[60:61], v[40:41], -v[60:61]
	v_add_f64_e64 v[62:63], v[42:43], -v[62:63]
	s_wait_dscnt 0x3
	v_add_f64_e64 v[64:65], v[44:45], -v[64:65]
	v_add_f64_e64 v[66:67], v[46:47], -v[66:67]
	;; [unrolled: 3-line block ×5, first 2 shown]
	v_mov_b32_e32 v83, v85
	v_fma_f64 v[40:41], v[40:41], 2.0, -v[60:61]
	v_fma_f64 v[42:43], v[42:43], 2.0, -v[62:63]
	;; [unrolled: 1-line block ×10, first 2 shown]
	ds_store_b128 v99, v[64:67] offset:1920
	ds_store_b128 v99, v[68:71] offset:2240
	;; [unrolled: 1-line block ×5, first 2 shown]
	ds_store_b128 v99, v[40:43]
	ds_store_b128 v99, v[44:47] offset:320
	ds_store_b128 v99, v[48:51] offset:640
	;; [unrolled: 1-line block ×4, first 2 shown]
	global_wb scope:SCOPE_SE
	s_wait_dscnt 0x0
	s_barrier_signal -1
	s_barrier_wait -1
	global_inv scope:SCOPE_SE
	ds_load_b128 v[40:43], v99
	ds_load_b128 v[44:47], v99 offset:320
	ds_load_b128 v[48:51], v99 offset:640
	v_lshlrev_b64_e32 v[79:80], 4, v[80:81]
	ds_load_b128 v[52:55], v99 offset:960
	ds_load_b128 v[56:59], v99 offset:1280
	;; [unrolled: 1-line block ×5, first 2 shown]
	v_lshlrev_b64_e32 v[81:82], 4, v[82:83]
	v_add_co_u32 v97, vcc_lo, s0, v79
	ds_load_b128 v[72:75], v99 offset:2560
	ds_load_b128 v[76:79], v99 offset:2880
	s_wait_alu 0xfffd
	v_add_co_ci_u32_e32 v111, vcc_lo, s1, v80, vcc_lo
	v_add_co_u32 v80, vcc_lo, v97, v81
	s_mul_u64 s[0:1], s[4:5], 0x140
	s_wait_alu 0xfffd
	s_delay_alu instid0(VALU_DEP_2)
	v_add_co_ci_u32_e32 v81, vcc_lo, v111, v82, vcc_lo
	s_wait_alu 0xfffe
	v_add_co_u32 v105, vcc_lo, v80, s0
	s_wait_dscnt 0x9
	v_mul_f64_e32 v[83:84], v[2:3], v[42:43]
	v_mul_f64_e32 v[2:3], v[2:3], v[40:41]
	s_wait_dscnt 0x8
	v_mul_f64_e32 v[85:86], v[6:7], v[46:47]
	v_mul_f64_e32 v[6:7], v[6:7], v[44:45]
	;; [unrolled: 3-line block ×10, first 2 shown]
	s_wait_alu 0xfffd
	v_add_co_ci_u32_e32 v106, vcc_lo, s1, v81, vcc_lo
	v_add_co_u32 v107, vcc_lo, v105, s0
	s_wait_alu 0xfffd
	s_delay_alu instid0(VALU_DEP_2) | instskip(NEXT) | instid1(VALU_DEP_2)
	v_add_co_ci_u32_e32 v108, vcc_lo, s1, v106, vcc_lo
	v_add_co_u32 v109, vcc_lo, v107, s0
	s_wait_alu 0xfffd
	s_delay_alu instid0(VALU_DEP_2)
	v_add_co_ci_u32_e32 v110, vcc_lo, s1, v108, vcc_lo
	v_fma_f64 v[40:41], v[0:1], v[40:41], v[83:84]
	v_fma_f64 v[2:3], v[0:1], v[42:43], -v[2:3]
	v_fma_f64 v[42:43], v[4:5], v[44:45], v[85:86]
	v_fma_f64 v[6:7], v[4:5], v[46:47], -v[6:7]
	;; [unrolled: 2-line block ×10, first 2 shown]
	v_add_co_u32 v52, vcc_lo, v109, s0
	s_wait_alu 0xfffd
	v_add_co_ci_u32_e32 v53, vcc_lo, s1, v110, vcc_lo
	v_mad_co_u64_u32 v[54:55], null, s4, v98, 0
	s_delay_alu instid0(VALU_DEP_3) | instskip(SKIP_1) | instid1(VALU_DEP_3)
	v_add_co_u32 v56, vcc_lo, v52, s0
	s_wait_alu 0xfffd
	v_add_co_ci_u32_e32 v57, vcc_lo, s1, v53, vcc_lo
	s_delay_alu instid0(VALU_DEP_2) | instskip(SKIP_1) | instid1(VALU_DEP_2)
	v_add_co_u32 v58, vcc_lo, v56, s0
	s_wait_alu 0xfffd
	v_add_co_ci_u32_e32 v59, vcc_lo, s1, v57, vcc_lo
	s_delay_alu instid0(VALU_DEP_2)
	v_add_co_u32 v60, vcc_lo, v58, s0
	v_mul_f64_e32 v[0:1], s[2:3], v[40:41]
	v_mul_f64_e32 v[2:3], s[2:3], v[2:3]
	;; [unrolled: 1-line block ×20, first 2 shown]
	s_wait_alu 0xfffd
	v_add_co_ci_u32_e32 v61, vcc_lo, s1, v59, vcc_lo
	v_mad_co_u64_u32 v[40:41], null, s5, v98, v[55:56]
	s_delay_alu instid0(VALU_DEP_2) | instskip(NEXT) | instid1(VALU_DEP_1)
	v_mad_co_u64_u32 v[41:42], null, 0x280, s4, v[60:61]
	v_dual_mov_b32 v55, v40 :: v_dual_mov_b32 v40, v42
	s_delay_alu instid0(VALU_DEP_1) | instskip(NEXT) | instid1(VALU_DEP_2)
	v_lshlrev_b64_e32 v[42:43], 4, v[54:55]
	v_mad_co_u64_u32 v[44:45], null, 0x280, s5, v[40:41]
	s_delay_alu instid0(VALU_DEP_2) | instskip(SKIP_1) | instid1(VALU_DEP_3)
	v_add_co_u32 v45, vcc_lo, v97, v42
	s_wait_alu 0xfffd
	v_add_co_ci_u32_e32 v46, vcc_lo, v111, v43, vcc_lo
	s_delay_alu instid0(VALU_DEP_3)
	v_mov_b32_e32 v42, v44
	s_clause 0x4
	global_store_b128 v[80:81], v[0:3], off
	global_store_b128 v[105:106], v[4:7], off
	;; [unrolled: 1-line block ×10, first 2 shown]
.LBB0_2:
	s_nop 0
	s_sendmsg sendmsg(MSG_DEALLOC_VGPRS)
	s_endpgm
	.section	.rodata,"a",@progbits
	.p2align	6, 0x0
	.amdhsa_kernel bluestein_single_back_len200_dim1_dp_op_CI_CI
		.amdhsa_group_segment_fixed_size 9600
		.amdhsa_private_segment_fixed_size 0
		.amdhsa_kernarg_size 104
		.amdhsa_user_sgpr_count 2
		.amdhsa_user_sgpr_dispatch_ptr 0
		.amdhsa_user_sgpr_queue_ptr 0
		.amdhsa_user_sgpr_kernarg_segment_ptr 1
		.amdhsa_user_sgpr_dispatch_id 0
		.amdhsa_user_sgpr_private_segment_size 0
		.amdhsa_wavefront_size32 1
		.amdhsa_uses_dynamic_stack 0
		.amdhsa_enable_private_segment 0
		.amdhsa_system_sgpr_workgroup_id_x 1
		.amdhsa_system_sgpr_workgroup_id_y 0
		.amdhsa_system_sgpr_workgroup_id_z 0
		.amdhsa_system_sgpr_workgroup_info 0
		.amdhsa_system_vgpr_workitem_id 0
		.amdhsa_next_free_vgpr 197
		.amdhsa_next_free_sgpr 26
		.amdhsa_reserve_vcc 1
		.amdhsa_float_round_mode_32 0
		.amdhsa_float_round_mode_16_64 0
		.amdhsa_float_denorm_mode_32 3
		.amdhsa_float_denorm_mode_16_64 3
		.amdhsa_fp16_overflow 0
		.amdhsa_workgroup_processor_mode 1
		.amdhsa_memory_ordered 1
		.amdhsa_forward_progress 0
		.amdhsa_round_robin_scheduling 0
		.amdhsa_exception_fp_ieee_invalid_op 0
		.amdhsa_exception_fp_denorm_src 0
		.amdhsa_exception_fp_ieee_div_zero 0
		.amdhsa_exception_fp_ieee_overflow 0
		.amdhsa_exception_fp_ieee_underflow 0
		.amdhsa_exception_fp_ieee_inexact 0
		.amdhsa_exception_int_div_zero 0
	.end_amdhsa_kernel
	.text
.Lfunc_end0:
	.size	bluestein_single_back_len200_dim1_dp_op_CI_CI, .Lfunc_end0-bluestein_single_back_len200_dim1_dp_op_CI_CI
                                        ; -- End function
	.section	.AMDGPU.csdata,"",@progbits
; Kernel info:
; codeLenInByte = 9520
; NumSgprs: 28
; NumVgprs: 197
; ScratchSize: 0
; MemoryBound: 0
; FloatMode: 240
; IeeeMode: 1
; LDSByteSize: 9600 bytes/workgroup (compile time only)
; SGPRBlocks: 3
; VGPRBlocks: 24
; NumSGPRsForWavesPerEU: 28
; NumVGPRsForWavesPerEU: 197
; Occupancy: 7
; WaveLimiterHint : 1
; COMPUTE_PGM_RSRC2:SCRATCH_EN: 0
; COMPUTE_PGM_RSRC2:USER_SGPR: 2
; COMPUTE_PGM_RSRC2:TRAP_HANDLER: 0
; COMPUTE_PGM_RSRC2:TGID_X_EN: 1
; COMPUTE_PGM_RSRC2:TGID_Y_EN: 0
; COMPUTE_PGM_RSRC2:TGID_Z_EN: 0
; COMPUTE_PGM_RSRC2:TIDIG_COMP_CNT: 0
	.text
	.p2alignl 7, 3214868480
	.fill 96, 4, 3214868480
	.type	__hip_cuid_b49b3cbe7279afd,@object ; @__hip_cuid_b49b3cbe7279afd
	.section	.bss,"aw",@nobits
	.globl	__hip_cuid_b49b3cbe7279afd
__hip_cuid_b49b3cbe7279afd:
	.byte	0                               ; 0x0
	.size	__hip_cuid_b49b3cbe7279afd, 1

	.ident	"AMD clang version 19.0.0git (https://github.com/RadeonOpenCompute/llvm-project roc-6.4.0 25133 c7fe45cf4b819c5991fe208aaa96edf142730f1d)"
	.section	".note.GNU-stack","",@progbits
	.addrsig
	.addrsig_sym __hip_cuid_b49b3cbe7279afd
	.amdgpu_metadata
---
amdhsa.kernels:
  - .args:
      - .actual_access:  read_only
        .address_space:  global
        .offset:         0
        .size:           8
        .value_kind:     global_buffer
      - .actual_access:  read_only
        .address_space:  global
        .offset:         8
        .size:           8
        .value_kind:     global_buffer
      - .actual_access:  read_only
        .address_space:  global
        .offset:         16
        .size:           8
        .value_kind:     global_buffer
      - .actual_access:  read_only
        .address_space:  global
        .offset:         24
        .size:           8
        .value_kind:     global_buffer
      - .actual_access:  read_only
        .address_space:  global
        .offset:         32
        .size:           8
        .value_kind:     global_buffer
      - .offset:         40
        .size:           8
        .value_kind:     by_value
      - .address_space:  global
        .offset:         48
        .size:           8
        .value_kind:     global_buffer
      - .address_space:  global
        .offset:         56
        .size:           8
        .value_kind:     global_buffer
      - .address_space:  global
        .offset:         64
        .size:           8
        .value_kind:     global_buffer
      - .address_space:  global
        .offset:         72
        .size:           8
        .value_kind:     global_buffer
      - .offset:         80
        .size:           4
        .value_kind:     by_value
      - .address_space:  global
        .offset:         88
        .size:           8
        .value_kind:     global_buffer
      - .address_space:  global
        .offset:         96
        .size:           8
        .value_kind:     global_buffer
    .group_segment_fixed_size: 9600
    .kernarg_segment_align: 8
    .kernarg_segment_size: 104
    .language:       OpenCL C
    .language_version:
      - 2
      - 0
    .max_flat_workgroup_size: 60
    .name:           bluestein_single_back_len200_dim1_dp_op_CI_CI
    .private_segment_fixed_size: 0
    .sgpr_count:     28
    .sgpr_spill_count: 0
    .symbol:         bluestein_single_back_len200_dim1_dp_op_CI_CI.kd
    .uniform_work_group_size: 1
    .uses_dynamic_stack: false
    .vgpr_count:     197
    .vgpr_spill_count: 0
    .wavefront_size: 32
    .workgroup_processor_mode: 1
amdhsa.target:   amdgcn-amd-amdhsa--gfx1201
amdhsa.version:
  - 1
  - 2
...

	.end_amdgpu_metadata
